;; amdgpu-corpus repo=ROCm/rocFFT kind=compiled arch=gfx1201 opt=O3
	.text
	.amdgcn_target "amdgcn-amd-amdhsa--gfx1201"
	.amdhsa_code_object_version 6
	.protected	fft_rtc_fwd_len1350_factors_5_10_3_3_3_wgs_135_tpt_135_halfLds_dp_ip_CI_unitstride_sbrr_C2R_dirReg ; -- Begin function fft_rtc_fwd_len1350_factors_5_10_3_3_3_wgs_135_tpt_135_halfLds_dp_ip_CI_unitstride_sbrr_C2R_dirReg
	.globl	fft_rtc_fwd_len1350_factors_5_10_3_3_3_wgs_135_tpt_135_halfLds_dp_ip_CI_unitstride_sbrr_C2R_dirReg
	.p2align	8
	.type	fft_rtc_fwd_len1350_factors_5_10_3_3_3_wgs_135_tpt_135_halfLds_dp_ip_CI_unitstride_sbrr_C2R_dirReg,@function
fft_rtc_fwd_len1350_factors_5_10_3_3_3_wgs_135_tpt_135_halfLds_dp_ip_CI_unitstride_sbrr_C2R_dirReg: ; @fft_rtc_fwd_len1350_factors_5_10_3_3_3_wgs_135_tpt_135_halfLds_dp_ip_CI_unitstride_sbrr_C2R_dirReg
; %bb.0:
	s_clause 0x2
	s_load_b128 s[4:7], s[0:1], 0x0
	s_load_b64 s[8:9], s[0:1], 0x50
	s_load_b64 s[10:11], s[0:1], 0x18
	v_mul_u32_u24_e32 v1, 0x1e6, v0
	v_mov_b32_e32 v3, 0
	s_delay_alu instid0(VALU_DEP_2) | instskip(NEXT) | instid1(VALU_DEP_1)
	v_lshrrev_b32_e32 v1, 16, v1
	v_add_nc_u32_e32 v5, ttmp9, v1
	v_mov_b32_e32 v1, 0
	v_mov_b32_e32 v2, 0
	;; [unrolled: 1-line block ×3, first 2 shown]
	s_wait_kmcnt 0x0
	v_cmp_lt_u64_e64 s2, s[6:7], 2
	s_delay_alu instid0(VALU_DEP_1)
	s_and_b32 vcc_lo, exec_lo, s2
	s_cbranch_vccnz .LBB0_8
; %bb.1:
	s_load_b64 s[2:3], s[0:1], 0x10
	v_mov_b32_e32 v1, 0
	v_mov_b32_e32 v2, 0
	s_add_nc_u64 s[12:13], s[10:11], 8
	s_mov_b64 s[14:15], 1
	s_wait_kmcnt 0x0
	s_add_nc_u64 s[16:17], s[2:3], 8
	s_mov_b32 s3, 0
.LBB0_2:                                ; =>This Inner Loop Header: Depth=1
	s_load_b64 s[18:19], s[16:17], 0x0
                                        ; implicit-def: $vgpr7_vgpr8
	s_mov_b32 s2, exec_lo
	s_wait_kmcnt 0x0
	v_or_b32_e32 v4, s19, v6
	s_delay_alu instid0(VALU_DEP_1)
	v_cmpx_ne_u64_e32 0, v[3:4]
	s_wait_alu 0xfffe
	s_xor_b32 s20, exec_lo, s2
	s_cbranch_execz .LBB0_4
; %bb.3:                                ;   in Loop: Header=BB0_2 Depth=1
	s_cvt_f32_u32 s2, s18
	s_cvt_f32_u32 s21, s19
	s_sub_nc_u64 s[24:25], 0, s[18:19]
	s_wait_alu 0xfffe
	s_delay_alu instid0(SALU_CYCLE_1) | instskip(SKIP_1) | instid1(SALU_CYCLE_2)
	s_fmamk_f32 s2, s21, 0x4f800000, s2
	s_wait_alu 0xfffe
	v_s_rcp_f32 s2, s2
	s_delay_alu instid0(TRANS32_DEP_1) | instskip(SKIP_1) | instid1(SALU_CYCLE_2)
	s_mul_f32 s2, s2, 0x5f7ffffc
	s_wait_alu 0xfffe
	s_mul_f32 s21, s2, 0x2f800000
	s_wait_alu 0xfffe
	s_delay_alu instid0(SALU_CYCLE_2) | instskip(SKIP_1) | instid1(SALU_CYCLE_2)
	s_trunc_f32 s21, s21
	s_wait_alu 0xfffe
	s_fmamk_f32 s2, s21, 0xcf800000, s2
	s_cvt_u32_f32 s23, s21
	s_wait_alu 0xfffe
	s_delay_alu instid0(SALU_CYCLE_1) | instskip(SKIP_1) | instid1(SALU_CYCLE_2)
	s_cvt_u32_f32 s22, s2
	s_wait_alu 0xfffe
	s_mul_u64 s[26:27], s[24:25], s[22:23]
	s_wait_alu 0xfffe
	s_mul_hi_u32 s29, s22, s27
	s_mul_i32 s28, s22, s27
	s_mul_hi_u32 s2, s22, s26
	s_mul_i32 s30, s23, s26
	s_wait_alu 0xfffe
	s_add_nc_u64 s[28:29], s[2:3], s[28:29]
	s_mul_hi_u32 s21, s23, s26
	s_mul_hi_u32 s31, s23, s27
	s_add_co_u32 s2, s28, s30
	s_wait_alu 0xfffe
	s_add_co_ci_u32 s2, s29, s21
	s_mul_i32 s26, s23, s27
	s_add_co_ci_u32 s27, s31, 0
	s_wait_alu 0xfffe
	s_add_nc_u64 s[26:27], s[2:3], s[26:27]
	s_wait_alu 0xfffe
	v_add_co_u32 v4, s2, s22, s26
	s_delay_alu instid0(VALU_DEP_1) | instskip(SKIP_1) | instid1(VALU_DEP_1)
	s_cmp_lg_u32 s2, 0
	s_add_co_ci_u32 s23, s23, s27
	v_readfirstlane_b32 s22, v4
	s_wait_alu 0xfffe
	s_delay_alu instid0(VALU_DEP_1)
	s_mul_u64 s[24:25], s[24:25], s[22:23]
	s_wait_alu 0xfffe
	s_mul_hi_u32 s27, s22, s25
	s_mul_i32 s26, s22, s25
	s_mul_hi_u32 s2, s22, s24
	s_mul_i32 s28, s23, s24
	s_wait_alu 0xfffe
	s_add_nc_u64 s[26:27], s[2:3], s[26:27]
	s_mul_hi_u32 s21, s23, s24
	s_mul_hi_u32 s22, s23, s25
	s_wait_alu 0xfffe
	s_add_co_u32 s2, s26, s28
	s_add_co_ci_u32 s2, s27, s21
	s_mul_i32 s24, s23, s25
	s_add_co_ci_u32 s25, s22, 0
	s_wait_alu 0xfffe
	s_add_nc_u64 s[24:25], s[2:3], s[24:25]
	s_wait_alu 0xfffe
	v_add_co_u32 v4, s2, v4, s24
	s_delay_alu instid0(VALU_DEP_1) | instskip(SKIP_1) | instid1(VALU_DEP_1)
	s_cmp_lg_u32 s2, 0
	s_add_co_ci_u32 s2, s23, s25
	v_mul_hi_u32 v13, v5, v4
	s_wait_alu 0xfffe
	v_mad_co_u64_u32 v[7:8], null, v5, s2, 0
	v_mad_co_u64_u32 v[9:10], null, v6, v4, 0
	;; [unrolled: 1-line block ×3, first 2 shown]
	s_delay_alu instid0(VALU_DEP_3) | instskip(SKIP_1) | instid1(VALU_DEP_4)
	v_add_co_u32 v4, vcc_lo, v13, v7
	s_wait_alu 0xfffd
	v_add_co_ci_u32_e32 v7, vcc_lo, 0, v8, vcc_lo
	s_delay_alu instid0(VALU_DEP_2) | instskip(SKIP_1) | instid1(VALU_DEP_2)
	v_add_co_u32 v4, vcc_lo, v4, v9
	s_wait_alu 0xfffd
	v_add_co_ci_u32_e32 v4, vcc_lo, v7, v10, vcc_lo
	s_wait_alu 0xfffd
	v_add_co_ci_u32_e32 v7, vcc_lo, 0, v12, vcc_lo
	s_delay_alu instid0(VALU_DEP_2) | instskip(SKIP_1) | instid1(VALU_DEP_2)
	v_add_co_u32 v4, vcc_lo, v4, v11
	s_wait_alu 0xfffd
	v_add_co_ci_u32_e32 v9, vcc_lo, 0, v7, vcc_lo
	s_delay_alu instid0(VALU_DEP_2) | instskip(SKIP_1) | instid1(VALU_DEP_3)
	v_mul_lo_u32 v10, s19, v4
	v_mad_co_u64_u32 v[7:8], null, s18, v4, 0
	v_mul_lo_u32 v11, s18, v9
	s_delay_alu instid0(VALU_DEP_2) | instskip(NEXT) | instid1(VALU_DEP_2)
	v_sub_co_u32 v7, vcc_lo, v5, v7
	v_add3_u32 v8, v8, v11, v10
	s_delay_alu instid0(VALU_DEP_1) | instskip(SKIP_1) | instid1(VALU_DEP_1)
	v_sub_nc_u32_e32 v10, v6, v8
	s_wait_alu 0xfffd
	v_subrev_co_ci_u32_e64 v10, s2, s19, v10, vcc_lo
	v_add_co_u32 v11, s2, v4, 2
	s_wait_alu 0xf1ff
	v_add_co_ci_u32_e64 v12, s2, 0, v9, s2
	v_sub_co_u32 v13, s2, v7, s18
	v_sub_co_ci_u32_e32 v8, vcc_lo, v6, v8, vcc_lo
	s_wait_alu 0xf1ff
	v_subrev_co_ci_u32_e64 v10, s2, 0, v10, s2
	s_delay_alu instid0(VALU_DEP_3) | instskip(NEXT) | instid1(VALU_DEP_3)
	v_cmp_le_u32_e32 vcc_lo, s18, v13
	v_cmp_eq_u32_e64 s2, s19, v8
	s_wait_alu 0xfffd
	v_cndmask_b32_e64 v13, 0, -1, vcc_lo
	v_cmp_le_u32_e32 vcc_lo, s19, v10
	s_wait_alu 0xfffd
	v_cndmask_b32_e64 v14, 0, -1, vcc_lo
	v_cmp_le_u32_e32 vcc_lo, s18, v7
	;; [unrolled: 3-line block ×3, first 2 shown]
	s_wait_alu 0xfffd
	v_cndmask_b32_e64 v15, 0, -1, vcc_lo
	v_cmp_eq_u32_e32 vcc_lo, s19, v10
	s_wait_alu 0xf1ff
	s_delay_alu instid0(VALU_DEP_2)
	v_cndmask_b32_e64 v7, v15, v7, s2
	s_wait_alu 0xfffd
	v_cndmask_b32_e32 v10, v14, v13, vcc_lo
	v_add_co_u32 v13, vcc_lo, v4, 1
	s_wait_alu 0xfffd
	v_add_co_ci_u32_e32 v14, vcc_lo, 0, v9, vcc_lo
	s_delay_alu instid0(VALU_DEP_3) | instskip(SKIP_2) | instid1(VALU_DEP_3)
	v_cmp_ne_u32_e32 vcc_lo, 0, v10
	s_wait_alu 0xfffd
	v_cndmask_b32_e32 v10, v13, v11, vcc_lo
	v_cndmask_b32_e32 v8, v14, v12, vcc_lo
	v_cmp_ne_u32_e32 vcc_lo, 0, v7
	s_wait_alu 0xfffd
	s_delay_alu instid0(VALU_DEP_2)
	v_dual_cndmask_b32 v7, v4, v10 :: v_dual_cndmask_b32 v8, v9, v8
.LBB0_4:                                ;   in Loop: Header=BB0_2 Depth=1
	s_wait_alu 0xfffe
	s_and_not1_saveexec_b32 s2, s20
	s_cbranch_execz .LBB0_6
; %bb.5:                                ;   in Loop: Header=BB0_2 Depth=1
	v_cvt_f32_u32_e32 v4, s18
	s_sub_co_i32 s20, 0, s18
	s_delay_alu instid0(VALU_DEP_1) | instskip(NEXT) | instid1(TRANS32_DEP_1)
	v_rcp_iflag_f32_e32 v4, v4
	v_mul_f32_e32 v4, 0x4f7ffffe, v4
	s_delay_alu instid0(VALU_DEP_1) | instskip(SKIP_1) | instid1(VALU_DEP_1)
	v_cvt_u32_f32_e32 v4, v4
	s_wait_alu 0xfffe
	v_mul_lo_u32 v7, s20, v4
	s_delay_alu instid0(VALU_DEP_1) | instskip(NEXT) | instid1(VALU_DEP_1)
	v_mul_hi_u32 v7, v4, v7
	v_add_nc_u32_e32 v4, v4, v7
	s_delay_alu instid0(VALU_DEP_1) | instskip(NEXT) | instid1(VALU_DEP_1)
	v_mul_hi_u32 v4, v5, v4
	v_mul_lo_u32 v7, v4, s18
	v_add_nc_u32_e32 v8, 1, v4
	s_delay_alu instid0(VALU_DEP_2) | instskip(NEXT) | instid1(VALU_DEP_1)
	v_sub_nc_u32_e32 v7, v5, v7
	v_subrev_nc_u32_e32 v9, s18, v7
	v_cmp_le_u32_e32 vcc_lo, s18, v7
	s_wait_alu 0xfffd
	s_delay_alu instid0(VALU_DEP_2) | instskip(NEXT) | instid1(VALU_DEP_1)
	v_dual_cndmask_b32 v7, v7, v9 :: v_dual_cndmask_b32 v4, v4, v8
	v_cmp_le_u32_e32 vcc_lo, s18, v7
	s_delay_alu instid0(VALU_DEP_2) | instskip(SKIP_1) | instid1(VALU_DEP_1)
	v_add_nc_u32_e32 v8, 1, v4
	s_wait_alu 0xfffd
	v_dual_cndmask_b32 v7, v4, v8 :: v_dual_mov_b32 v8, v3
.LBB0_6:                                ;   in Loop: Header=BB0_2 Depth=1
	s_wait_alu 0xfffe
	s_or_b32 exec_lo, exec_lo, s2
	s_load_b64 s[20:21], s[12:13], 0x0
	s_delay_alu instid0(VALU_DEP_1)
	v_mul_lo_u32 v4, v8, s18
	v_mul_lo_u32 v11, v7, s19
	v_mad_co_u64_u32 v[9:10], null, v7, s18, 0
	s_add_nc_u64 s[14:15], s[14:15], 1
	s_add_nc_u64 s[12:13], s[12:13], 8
	s_wait_alu 0xfffe
	v_cmp_ge_u64_e64 s2, s[14:15], s[6:7]
	s_add_nc_u64 s[16:17], s[16:17], 8
	s_delay_alu instid0(VALU_DEP_2) | instskip(NEXT) | instid1(VALU_DEP_3)
	v_add3_u32 v4, v10, v11, v4
	v_sub_co_u32 v5, vcc_lo, v5, v9
	s_wait_alu 0xfffd
	s_delay_alu instid0(VALU_DEP_2) | instskip(SKIP_3) | instid1(VALU_DEP_2)
	v_sub_co_ci_u32_e32 v4, vcc_lo, v6, v4, vcc_lo
	s_and_b32 vcc_lo, exec_lo, s2
	s_wait_kmcnt 0x0
	v_mul_lo_u32 v6, s21, v5
	v_mul_lo_u32 v4, s20, v4
	v_mad_co_u64_u32 v[1:2], null, s20, v5, v[1:2]
	s_delay_alu instid0(VALU_DEP_1)
	v_add3_u32 v2, v6, v2, v4
	s_wait_alu 0xfffe
	s_cbranch_vccnz .LBB0_9
; %bb.7:                                ;   in Loop: Header=BB0_2 Depth=1
	v_dual_mov_b32 v5, v7 :: v_dual_mov_b32 v6, v8
	s_branch .LBB0_2
.LBB0_8:
	v_dual_mov_b32 v8, v6 :: v_dual_mov_b32 v7, v5
.LBB0_9:
	s_lshl_b64 s[2:3], s[6:7], 3
	v_mul_hi_u32 v5, 0x1e573ad, v0
	s_wait_alu 0xfffe
	s_add_nc_u64 s[2:3], s[10:11], s[2:3]
	s_load_b64 s[2:3], s[2:3], 0x0
	s_load_b64 s[0:1], s[0:1], 0x20
	s_wait_kmcnt 0x0
	v_mul_lo_u32 v3, s2, v8
	v_mul_lo_u32 v4, s3, v7
	v_mad_co_u64_u32 v[1:2], null, s2, v7, v[1:2]
	v_cmp_gt_u64_e32 vcc_lo, s[0:1], v[7:8]
	s_delay_alu instid0(VALU_DEP_2) | instskip(SKIP_1) | instid1(VALU_DEP_2)
	v_add3_u32 v2, v4, v2, v3
	v_mul_u32_u24_e32 v3, 0x87, v5
	v_lshlrev_b64_e32 v[50:51], 4, v[1:2]
	s_delay_alu instid0(VALU_DEP_2)
	v_sub_nc_u32_e32 v48, v0, v3
	s_and_saveexec_b32 s1, vcc_lo
	s_cbranch_execz .LBB0_13
; %bb.10:
	v_mov_b32_e32 v49, 0
	s_delay_alu instid0(VALU_DEP_3) | instskip(SKIP_2) | instid1(VALU_DEP_3)
	v_add_co_u32 v0, s0, s8, v50
	s_wait_alu 0xf1ff
	v_add_co_ci_u32_e64 v1, s0, s9, v51, s0
	v_lshlrev_b64_e32 v[2:3], 4, v[48:49]
	v_lshl_add_u32 v42, v48, 4, 0
	s_mov_b32 s2, exec_lo
	s_delay_alu instid0(VALU_DEP_2) | instskip(SKIP_1) | instid1(VALU_DEP_3)
	v_add_co_u32 v38, s0, v0, v2
	s_wait_alu 0xf1ff
	v_add_co_ci_u32_e64 v39, s0, v1, v3, s0
	s_clause 0x9
	global_load_b128 v[2:5], v[38:39], off
	global_load_b128 v[6:9], v[38:39], off offset:2160
	global_load_b128 v[10:13], v[38:39], off offset:4320
	;; [unrolled: 1-line block ×9, first 2 shown]
	s_wait_loadcnt 0x9
	ds_store_b128 v42, v[2:5]
	s_wait_loadcnt 0x8
	ds_store_b128 v42, v[6:9] offset:2160
	s_wait_loadcnt 0x7
	ds_store_b128 v42, v[10:13] offset:4320
	;; [unrolled: 2-line block ×9, first 2 shown]
	v_cmpx_eq_u32_e32 0x86, v48
	s_cbranch_execz .LBB0_12
; %bb.11:
	global_load_b128 v[0:3], v[0:1], off offset:21600
	v_mov_b32_e32 v48, 0x86
	s_wait_loadcnt 0x0
	ds_store_b128 v49, v[0:3] offset:21600
.LBB0_12:
	s_wait_alu 0xfffe
	s_or_b32 exec_lo, exec_lo, s2
.LBB0_13:
	s_wait_alu 0xfffe
	s_or_b32 exec_lo, exec_lo, s1
	v_lshlrev_b32_e32 v0, 4, v48
	global_wb scope:SCOPE_SE
	s_wait_dscnt 0x0
	s_barrier_signal -1
	s_barrier_wait -1
	global_inv scope:SCOPE_SE
	v_add_nc_u32_e32 v56, 0, v0
	v_sub_nc_u32_e32 v10, 0, v0
	s_mov_b32 s1, exec_lo
                                        ; implicit-def: $vgpr4_vgpr5
	ds_load_b64 v[6:7], v56
	ds_load_b64 v[8:9], v10 offset:21600
	s_wait_dscnt 0x0
	v_add_f64_e32 v[0:1], v[6:7], v[8:9]
	v_add_f64_e64 v[2:3], v[6:7], -v[8:9]
	v_cmpx_ne_u32_e32 0, v48
	s_wait_alu 0xfffe
	s_xor_b32 s1, exec_lo, s1
	s_cbranch_execz .LBB0_15
; %bb.14:
	v_mov_b32_e32 v49, 0
	v_add_f64_e32 v[13:14], v[6:7], v[8:9]
	v_add_f64_e64 v[15:16], v[6:7], -v[8:9]
	s_delay_alu instid0(VALU_DEP_3) | instskip(NEXT) | instid1(VALU_DEP_1)
	v_lshlrev_b64_e32 v[0:1], 4, v[48:49]
	v_add_co_u32 v0, s0, s4, v0
	s_wait_alu 0xf1ff
	s_delay_alu instid0(VALU_DEP_2)
	v_add_co_ci_u32_e64 v1, s0, s5, v1, s0
	global_load_b128 v[2:5], v[0:1], off offset:21520
	ds_load_b64 v[0:1], v10 offset:21608
	ds_load_b64 v[11:12], v56 offset:8
	s_wait_dscnt 0x0
	v_add_f64_e32 v[6:7], v[0:1], v[11:12]
	v_add_f64_e64 v[0:1], v[11:12], -v[0:1]
	s_wait_loadcnt 0x0
	v_fma_f64 v[8:9], v[15:16], v[4:5], v[13:14]
	v_fma_f64 v[11:12], -v[15:16], v[4:5], v[13:14]
	s_delay_alu instid0(VALU_DEP_3) | instskip(SKIP_1) | instid1(VALU_DEP_4)
	v_fma_f64 v[13:14], v[6:7], v[4:5], -v[0:1]
	v_fma_f64 v[4:5], v[6:7], v[4:5], v[0:1]
	v_fma_f64 v[0:1], -v[6:7], v[2:3], v[8:9]
	s_delay_alu instid0(VALU_DEP_4) | instskip(NEXT) | instid1(VALU_DEP_4)
	v_fma_f64 v[6:7], v[6:7], v[2:3], v[11:12]
	v_fma_f64 v[8:9], v[15:16], v[2:3], v[13:14]
	s_delay_alu instid0(VALU_DEP_4)
	v_fma_f64 v[2:3], v[15:16], v[2:3], v[4:5]
	v_dual_mov_b32 v4, v48 :: v_dual_mov_b32 v5, v49
	ds_store_b128 v10, v[6:9] offset:21600
.LBB0_15:
	s_wait_alu 0xfffe
	s_and_not1_saveexec_b32 s0, s1
	s_cbranch_execz .LBB0_17
; %bb.16:
	v_mov_b32_e32 v8, 0
	ds_load_b128 v[4:7], v8 offset:10800
	s_wait_dscnt 0x0
	v_add_f64_e32 v[11:12], v[4:5], v[4:5]
	v_mul_f64_e32 v[13:14], -2.0, v[6:7]
	v_mov_b32_e32 v4, 0
	v_mov_b32_e32 v5, 0
	ds_store_b128 v8, v[11:14] offset:10800
.LBB0_17:
	s_wait_alu 0xfffe
	s_or_b32 exec_lo, exec_lo, s0
	v_lshlrev_b64_e32 v[4:5], 4, v[4:5]
	s_add_nc_u64 s[0:1], s[4:5], 0x5410
	s_mov_b32 s2, 0x134454ff
	s_mov_b32 s3, 0x3fee6f0e
	;; [unrolled: 1-line block ×4, first 2 shown]
	s_wait_alu 0xfffe
	v_add_co_u32 v23, s0, s0, v4
	s_wait_alu 0xf1ff
	v_add_co_ci_u32_e64 v24, s0, s1, v5, s0
	s_mov_b32 s1, 0xbfee6f0e
	s_mov_b32 s0, s2
	;; [unrolled: 1-line block ×3, first 2 shown]
	s_clause 0x1
	global_load_b128 v[4:7], v[23:24], off offset:2160
	global_load_b128 v[11:14], v[23:24], off offset:4320
	ds_store_b128 v56, v[0:3]
	ds_load_b128 v[0:3], v56 offset:2160
	ds_load_b128 v[15:18], v10 offset:19440
	global_load_b128 v[19:22], v[23:24], off offset:6480
	s_mov_b32 s6, s10
	v_and_b32_e32 v49, 0xff, v48
	s_mov_b32 s12, 0x372fe950
	s_mov_b32 s13, 0x3fd3c6ef
	;; [unrolled: 1-line block ×4, first 2 shown]
	s_wait_dscnt 0x0
	v_add_f64_e32 v[8:9], v[0:1], v[15:16]
	v_add_f64_e32 v[25:26], v[17:18], v[2:3]
	v_add_f64_e64 v[15:16], v[0:1], -v[15:16]
	v_add_f64_e64 v[0:1], v[2:3], -v[17:18]
	s_wait_loadcnt 0x2
	s_delay_alu instid0(VALU_DEP_2) | instskip(NEXT) | instid1(VALU_DEP_2)
	v_fma_f64 v[2:3], v[15:16], v[6:7], v[8:9]
	v_fma_f64 v[17:18], v[25:26], v[6:7], v[0:1]
	v_fma_f64 v[8:9], -v[15:16], v[6:7], v[8:9]
	v_fma_f64 v[27:28], v[25:26], v[6:7], -v[0:1]
	s_delay_alu instid0(VALU_DEP_4) | instskip(NEXT) | instid1(VALU_DEP_4)
	v_fma_f64 v[0:1], -v[25:26], v[4:5], v[2:3]
	v_fma_f64 v[2:3], v[15:16], v[4:5], v[17:18]
	s_delay_alu instid0(VALU_DEP_4) | instskip(NEXT) | instid1(VALU_DEP_4)
	v_fma_f64 v[6:7], v[25:26], v[4:5], v[8:9]
	v_fma_f64 v[8:9], v[15:16], v[4:5], v[27:28]
	ds_store_b128 v56, v[0:3] offset:2160
	ds_store_b128 v10, v[6:9] offset:19440
	ds_load_b128 v[0:3], v56 offset:4320
	ds_load_b128 v[4:7], v10 offset:17280
	global_load_b128 v[15:18], v[23:24], off offset:8640
	s_wait_dscnt 0x0
	v_add_f64_e32 v[8:9], v[0:1], v[4:5]
	v_add_f64_e32 v[23:24], v[6:7], v[2:3]
	v_add_f64_e64 v[25:26], v[0:1], -v[4:5]
	v_add_f64_e64 v[0:1], v[2:3], -v[6:7]
	s_wait_loadcnt 0x2
	s_delay_alu instid0(VALU_DEP_2) | instskip(NEXT) | instid1(VALU_DEP_2)
	v_fma_f64 v[2:3], v[25:26], v[13:14], v[8:9]
	v_fma_f64 v[4:5], v[23:24], v[13:14], v[0:1]
	v_fma_f64 v[6:7], -v[25:26], v[13:14], v[8:9]
	v_fma_f64 v[8:9], v[23:24], v[13:14], -v[0:1]
	s_delay_alu instid0(VALU_DEP_4) | instskip(NEXT) | instid1(VALU_DEP_4)
	v_fma_f64 v[0:1], -v[23:24], v[11:12], v[2:3]
	v_fma_f64 v[2:3], v[25:26], v[11:12], v[4:5]
	s_delay_alu instid0(VALU_DEP_4) | instskip(NEXT) | instid1(VALU_DEP_4)
	v_fma_f64 v[4:5], v[23:24], v[11:12], v[6:7]
	v_fma_f64 v[6:7], v[25:26], v[11:12], v[8:9]
	ds_store_b128 v56, v[0:3] offset:4320
	ds_store_b128 v10, v[4:7] offset:17280
	ds_load_b128 v[0:3], v56 offset:6480
	ds_load_b128 v[4:7], v10 offset:15120
	s_wait_dscnt 0x0
	v_add_f64_e32 v[8:9], v[0:1], v[4:5]
	v_add_f64_e32 v[11:12], v[6:7], v[2:3]
	v_add_f64_e64 v[13:14], v[0:1], -v[4:5]
	v_add_f64_e64 v[0:1], v[2:3], -v[6:7]
	s_wait_loadcnt 0x1
	s_delay_alu instid0(VALU_DEP_2) | instskip(NEXT) | instid1(VALU_DEP_2)
	v_fma_f64 v[2:3], v[13:14], v[21:22], v[8:9]
	v_fma_f64 v[4:5], v[11:12], v[21:22], v[0:1]
	v_fma_f64 v[6:7], -v[13:14], v[21:22], v[8:9]
	v_fma_f64 v[8:9], v[11:12], v[21:22], -v[0:1]
	s_delay_alu instid0(VALU_DEP_4) | instskip(NEXT) | instid1(VALU_DEP_4)
	v_fma_f64 v[0:1], -v[11:12], v[19:20], v[2:3]
	v_fma_f64 v[2:3], v[13:14], v[19:20], v[4:5]
	s_delay_alu instid0(VALU_DEP_4) | instskip(NEXT) | instid1(VALU_DEP_4)
	v_fma_f64 v[4:5], v[11:12], v[19:20], v[6:7]
	v_fma_f64 v[6:7], v[13:14], v[19:20], v[8:9]
	ds_store_b128 v56, v[0:3] offset:6480
	ds_store_b128 v10, v[4:7] offset:15120
	ds_load_b128 v[0:3], v56 offset:8640
	ds_load_b128 v[4:7], v10 offset:12960
	s_wait_dscnt 0x0
	v_add_f64_e32 v[8:9], v[0:1], v[4:5]
	v_add_f64_e32 v[11:12], v[6:7], v[2:3]
	v_add_f64_e64 v[13:14], v[0:1], -v[4:5]
	v_add_f64_e64 v[0:1], v[2:3], -v[6:7]
	s_wait_loadcnt 0x0
	s_delay_alu instid0(VALU_DEP_2) | instskip(NEXT) | instid1(VALU_DEP_2)
	v_fma_f64 v[2:3], v[13:14], v[17:18], v[8:9]
	v_fma_f64 v[4:5], v[11:12], v[17:18], v[0:1]
	v_fma_f64 v[6:7], -v[13:14], v[17:18], v[8:9]
	v_fma_f64 v[8:9], v[11:12], v[17:18], -v[0:1]
	s_delay_alu instid0(VALU_DEP_4) | instskip(NEXT) | instid1(VALU_DEP_4)
	v_fma_f64 v[0:1], -v[11:12], v[15:16], v[2:3]
	v_fma_f64 v[2:3], v[13:14], v[15:16], v[4:5]
	s_delay_alu instid0(VALU_DEP_4) | instskip(NEXT) | instid1(VALU_DEP_4)
	v_fma_f64 v[4:5], v[11:12], v[15:16], v[6:7]
	v_fma_f64 v[6:7], v[13:14], v[15:16], v[8:9]
	ds_store_b128 v56, v[0:3] offset:8640
	ds_store_b128 v10, v[4:7] offset:12960
	global_wb scope:SCOPE_SE
	s_wait_dscnt 0x0
	s_barrier_signal -1
	s_barrier_wait -1
	global_inv scope:SCOPE_SE
	global_wb scope:SCOPE_SE
	s_barrier_signal -1
	s_barrier_wait -1
	global_inv scope:SCOPE_SE
	ds_load_b128 v[0:3], v56
	ds_load_b128 v[4:7], v56 offset:4320
	ds_load_b128 v[8:11], v56 offset:8640
	ds_load_b128 v[12:15], v56 offset:12960
	ds_load_b128 v[16:19], v56 offset:17280
	ds_load_b128 v[20:23], v56 offset:6480
	ds_load_b128 v[24:27], v56 offset:10800
	ds_load_b128 v[28:31], v56 offset:15120
	ds_load_b128 v[32:35], v56 offset:19440
	ds_load_b128 v[36:39], v56 offset:2160
	global_wb scope:SCOPE_SE
	s_wait_dscnt 0x0
	s_barrier_signal -1
	s_barrier_wait -1
	global_inv scope:SCOPE_SE
	v_add_f64_e32 v[40:41], v[0:1], v[4:5]
	v_add_f64_e32 v[42:43], v[2:3], v[6:7]
	;; [unrolled: 1-line block ×10, first 2 shown]
	v_add_f64_e64 v[69:70], v[4:5], -v[8:9]
	v_add_f64_e64 v[71:72], v[16:17], -v[12:13]
	;; [unrolled: 1-line block ×12, first 2 shown]
	v_add_f64_e32 v[85:86], v[36:37], v[20:21]
	v_add_f64_e64 v[87:88], v[22:23], -v[34:35]
	v_add_f64_e64 v[89:90], v[20:21], -v[24:25]
	;; [unrolled: 1-line block ×3, first 2 shown]
	v_add_f64_e32 v[8:9], v[40:41], v[8:9]
	v_add_f64_e32 v[10:11], v[42:43], v[10:11]
	v_add_f64_e64 v[40:41], v[24:25], -v[20:21]
	v_add_f64_e64 v[42:43], v[28:29], -v[32:33]
	v_fma_f64 v[44:45], v[44:45], -0.5, v[0:1]
	v_fma_f64 v[0:1], v[46:47], -0.5, v[0:1]
	;; [unrolled: 1-line block ×4, first 2 shown]
	v_add_f64_e32 v[52:53], v[38:39], v[22:23]
	v_fma_f64 v[54:55], v[57:58], -0.5, v[36:37]
	v_fma_f64 v[36:37], v[59:60], -0.5, v[36:37]
	;; [unrolled: 1-line block ×4, first 2 shown]
	v_add_f64_e64 v[59:60], v[22:23], -v[26:27]
	v_add_f64_e64 v[61:62], v[34:35], -v[30:31]
	;; [unrolled: 1-line block ×5, first 2 shown]
	v_add_f64_e32 v[69:70], v[69:70], v[71:72]
	v_add_f64_e64 v[71:72], v[26:27], -v[30:31]
	v_add_f64_e32 v[73:74], v[73:74], v[75:76]
	v_add_f64_e64 v[75:76], v[24:25], -v[28:29]
	v_add_f64_e32 v[79:80], v[79:80], v[81:82]
	v_add_f64_e32 v[81:82], v[6:7], v[83:84]
	;; [unrolled: 1-line block ×8, first 2 shown]
	s_wait_alu 0xfffe
	v_fma_f64 v[26:27], v[65:66], s[0:1], v[44:45]
	v_add_f64_e32 v[42:43], v[59:60], v[61:62]
	v_fma_f64 v[59:60], v[4:5], s[0:1], v[46:47]
	v_add_f64_e32 v[52:53], v[22:23], v[63:64]
	v_fma_f64 v[22:23], v[65:66], s[2:3], v[44:45]
	v_fma_f64 v[44:45], v[67:68], s[0:1], v[0:1]
	;; [unrolled: 1-line block ×14, first 2 shown]
	v_add_f64_e32 v[6:7], v[6:7], v[28:29]
	v_add_f64_e32 v[12:13], v[24:25], v[30:31]
	v_fma_f64 v[28:29], v[77:78], s[6:7], v[59:60]
	v_fma_f64 v[14:15], v[67:68], s[10:11], v[22:23]
	;; [unrolled: 1-line block ×16, first 2 shown]
	v_mul_lo_u16 v0, 0xcd, v49
	v_add_f64_e32 v[2:3], v[10:11], v[18:19]
	v_add_f64_e32 v[6:7], v[6:7], v[32:33]
	s_delay_alu instid0(VALU_DEP_3) | instskip(SKIP_1) | instid1(VALU_DEP_2)
	v_lshrrev_b16 v4, 10, v0
	v_add_f64_e32 v[0:1], v[8:9], v[16:17]
	v_mul_lo_u16 v5, v4, 5
	v_and_b32_e32 v4, 0xffff, v4
	v_add_f64_e32 v[8:9], v[12:13], v[34:35]
	s_delay_alu instid0(VALU_DEP_3) | instskip(NEXT) | instid1(VALU_DEP_3)
	v_sub_nc_u16 v5, v48, v5
	v_mul_u32_u24_e32 v4, 0x320, v4
	s_delay_alu instid0(VALU_DEP_2)
	v_and_b32_e32 v5, 0xff, v5
	v_fma_f64 v[12:13], v[79:80], s[12:13], v[28:29]
	v_fma_f64 v[10:11], v[69:70], s[12:13], v[14:15]
	;; [unrolled: 1-line block ×16, first 2 shown]
	v_mul_u32_u24_e32 v42, 9, v5
	v_lshl_add_u32 v43, v48, 6, v56
	ds_store_b128 v43, v[0:3]
	ds_store_b128 v43, v[10:13] offset:16
	ds_store_b128 v43, v[18:21] offset:32
	;; [unrolled: 1-line block ×9, first 2 shown]
	v_lshlrev_b32_e32 v42, 4, v42
	global_wb scope:SCOPE_SE
	s_wait_dscnt 0x0
	s_barrier_signal -1
	s_barrier_wait -1
	global_inv scope:SCOPE_SE
	s_clause 0x8
	global_load_b128 v[0:3], v42, s[4:5] offset:32
	global_load_b128 v[6:9], v42, s[4:5] offset:64
	;; [unrolled: 1-line block ×4, first 2 shown]
	global_load_b128 v[18:21], v42, s[4:5]
	global_load_b128 v[22:25], v42, s[4:5] offset:16
	global_load_b128 v[26:29], v42, s[4:5] offset:48
	;; [unrolled: 1-line block ×4, first 2 shown]
	ds_load_b128 v[38:41], v56 offset:6480
	ds_load_b128 v[42:45], v56 offset:10800
	;; [unrolled: 1-line block ×8, first 2 shown]
	v_lshlrev_b32_e32 v5, 4, v5
	s_delay_alu instid0(VALU_DEP_1)
	v_add3_u32 v4, 0, v4, v5
	s_wait_loadcnt_dscnt 0x807
	v_mul_f64_e32 v[46:47], v[40:41], v[2:3]
	v_mul_f64_e32 v[2:3], v[38:39], v[2:3]
	s_wait_loadcnt_dscnt 0x706
	v_mul_f64_e32 v[77:78], v[44:45], v[8:9]
	v_mul_f64_e32 v[8:9], v[42:43], v[8:9]
	;; [unrolled: 3-line block ×4, first 2 shown]
	s_wait_loadcnt_dscnt 0x303
	v_mul_f64_e32 v[83:84], v[63:64], v[24:25]
	s_wait_loadcnt_dscnt 0x201
	v_mul_f64_e32 v[85:86], v[71:72], v[28:29]
	v_fma_f64 v[38:39], v[38:39], v[0:1], -v[46:47]
	v_fma_f64 v[40:41], v[40:41], v[0:1], v[2:3]
	ds_load_b128 v[0:3], v56 offset:17280
	v_mul_f64_e32 v[46:47], v[67:68], v[20:21]
	v_fma_f64 v[42:43], v[42:43], v[6:7], -v[77:78]
	v_fma_f64 v[6:7], v[44:45], v[6:7], v[8:9]
	v_mul_f64_e32 v[8:9], v[69:70], v[28:29]
	s_wait_loadcnt_dscnt 0x101
	v_mul_f64_e32 v[28:29], v[75:76], v[32:33]
	v_mul_f64_e32 v[32:33], v[73:74], v[32:33]
	v_fma_f64 v[52:53], v[52:53], v[10:11], -v[79:80]
	v_fma_f64 v[10:11], v[54:55], v[10:11], v[12:13]
	v_mul_f64_e32 v[12:13], v[61:62], v[24:25]
	v_mul_f64_e32 v[20:21], v[65:66], v[20:21]
	v_fma_f64 v[54:55], v[69:70], v[26:27], -v[85:86]
	s_wait_loadcnt_dscnt 0x0
	v_mul_f64_e32 v[44:45], v[2:3], v[36:37]
	v_mul_f64_e32 v[24:25], v[0:1], v[36:37]
	v_fma_f64 v[36:37], v[59:60], v[14:15], v[81:82]
	v_fma_f64 v[14:15], v[57:58], v[14:15], -v[16:17]
	v_fma_f64 v[16:17], v[65:66], v[18:19], -v[46:47]
	;; [unrolled: 1-line block ×3, first 2 shown]
	v_add_f64_e64 v[81:82], v[40:41], -v[6:7]
	v_fma_f64 v[8:9], v[71:72], v[26:27], v[8:9]
	v_fma_f64 v[26:27], v[73:74], v[30:31], -v[28:29]
	v_fma_f64 v[30:31], v[75:76], v[30:31], v[32:33]
	v_add_f64_e64 v[69:70], v[42:43], -v[52:53]
	v_add_f64_e64 v[65:66], v[6:7], -v[10:11]
	v_fma_f64 v[12:13], v[63:64], v[22:23], v[12:13]
	v_add_f64_e32 v[22:23], v[42:43], v[52:53]
	v_fma_f64 v[18:19], v[67:68], v[18:19], v[20:21]
	v_add_f64_e32 v[20:21], v[6:7], v[10:11]
	v_add_f64_e64 v[75:76], v[38:39], -v[42:43]
	v_add_f64_e64 v[85:86], v[6:7], -v[40:41]
	v_fma_f64 v[28:29], v[0:1], v[34:35], -v[44:45]
	v_fma_f64 v[24:25], v[2:3], v[34:35], v[24:25]
	v_add_f64_e32 v[32:33], v[40:41], v[36:37]
	v_add_f64_e32 v[34:35], v[38:39], v[14:15]
	v_add_f64_e64 v[61:62], v[40:41], -v[36:37]
	v_add_f64_e64 v[67:68], v[38:39], -v[14:15]
	ds_load_b128 v[0:3], v56
	v_add_f64_e64 v[77:78], v[14:15], -v[52:53]
	v_add_f64_e64 v[79:80], v[52:53], -v[14:15]
	;; [unrolled: 1-line block ×4, first 2 shown]
	global_wb scope:SCOPE_SE
	s_wait_dscnt 0x0
	s_barrier_signal -1
	s_barrier_wait -1
	global_inv scope:SCOPE_SE
	v_add_f64_e32 v[44:45], v[54:55], v[26:27]
	v_add_f64_e32 v[59:60], v[8:9], v[30:31]
	;; [unrolled: 1-line block ×4, first 2 shown]
	v_fma_f64 v[22:23], v[22:23], -0.5, v[16:17]
	v_fma_f64 v[20:21], v[20:21], -0.5, v[18:19]
	v_add_f64_e32 v[57:58], v[46:47], v[28:29]
	v_add_f64_e32 v[63:64], v[12:13], v[24:25]
	v_fma_f64 v[32:33], v[32:33], -0.5, v[18:19]
	v_fma_f64 v[34:35], v[34:35], -0.5, v[16:17]
	v_add_f64_e32 v[16:17], v[16:17], v[38:39]
	v_add_f64_e64 v[38:39], v[42:43], -v[38:39]
	v_add_f64_e32 v[18:19], v[18:19], v[40:41]
	v_add_f64_e64 v[40:41], v[12:13], -v[24:25]
	;; [unrolled: 2-line block ×3, first 2 shown]
	v_add_f64_e32 v[81:82], v[81:82], v[83:84]
	v_add_f64_e32 v[83:84], v[85:86], v[87:88]
	v_add_f64_e64 v[87:88], v[12:13], -v[8:9]
	v_add_f64_e64 v[12:13], v[8:9], -v[12:13]
	v_fma_f64 v[44:45], v[44:45], -0.5, v[0:1]
	v_add_f64_e32 v[8:9], v[73:74], v[8:9]
	v_fma_f64 v[89:90], v[61:62], s[2:3], v[22:23]
	v_fma_f64 v[22:23], v[61:62], s[0:1], v[22:23]
	v_fma_f64 v[0:1], v[57:58], -0.5, v[0:1]
	v_fma_f64 v[57:58], v[59:60], -0.5, v[2:3]
	v_fma_f64 v[59:60], v[67:68], s[0:1], v[20:21]
	v_fma_f64 v[2:3], v[63:64], -0.5, v[2:3]
	v_fma_f64 v[63:64], v[69:70], s[2:3], v[32:33]
	v_fma_f64 v[91:92], v[65:66], s[2:3], v[34:35]
	;; [unrolled: 1-line block ×5, first 2 shown]
	v_add_f64_e32 v[38:39], v[38:39], v[79:80]
	v_add_f64_e64 v[79:80], v[46:47], -v[28:29]
	v_add_f64_e32 v[16:17], v[16:17], v[42:43]
	v_add_f64_e32 v[6:7], v[18:19], v[6:7]
	v_fma_f64 v[18:19], v[40:41], s[2:3], v[44:45]
	v_fma_f64 v[42:43], v[40:41], s[0:1], v[44:45]
	v_add_f64_e32 v[8:9], v[8:9], v[30:31]
	v_fma_f64 v[89:90], v[65:66], s[10:11], v[89:90]
	v_fma_f64 v[22:23], v[65:66], s[6:7], v[22:23]
	v_add_f64_e64 v[65:66], v[54:55], -v[26:27]
	v_fma_f64 v[44:45], v[77:78], s[0:1], v[0:1]
	v_fma_f64 v[0:1], v[77:78], s[2:3], v[0:1]
	;; [unrolled: 1-line block ×8, first 2 shown]
	v_add_f64_e64 v[61:62], v[46:47], -v[54:55]
	v_add_f64_e64 v[46:47], v[54:55], -v[46:47]
	v_add_f64_e32 v[54:55], v[71:72], v[54:55]
	v_add_f64_e64 v[67:68], v[28:29], -v[26:27]
	v_add_f64_e64 v[69:70], v[26:27], -v[28:29]
	;; [unrolled: 1-line block ×3, first 2 shown]
	v_fma_f64 v[73:74], v[79:80], s[0:1], v[57:58]
	v_add_f64_e64 v[71:72], v[30:31], -v[24:25]
	v_fma_f64 v[57:58], v[79:80], s[2:3], v[57:58]
	v_add_f64_e32 v[16:17], v[16:17], v[52:53]
	v_add_f64_e32 v[6:7], v[6:7], v[10:11]
	v_fma_f64 v[10:11], v[77:78], s[10:11], v[18:19]
	v_fma_f64 v[18:19], v[77:78], s[6:7], v[42:43]
	v_add_f64_e32 v[24:25], v[8:9], v[24:25]
	v_fma_f64 v[89:90], v[75:76], s[12:13], v[89:90]
	v_fma_f64 v[22:23], v[75:76], s[12:13], v[22:23]
	;; [unrolled: 1-line block ×12, first 2 shown]
	v_add_f64_e32 v[26:27], v[54:55], v[26:27]
	v_add_f64_e32 v[38:39], v[61:62], v[67:68]
	;; [unrolled: 1-line block ×4, first 2 shown]
	v_fma_f64 v[40:41], v[65:66], s[6:7], v[73:74]
	v_add_f64_e32 v[12:13], v[12:13], v[71:72]
	v_fma_f64 v[42:43], v[65:66], s[10:11], v[57:58]
	v_add_f64_e32 v[14:15], v[16:17], v[14:15]
	v_add_f64_e32 v[16:17], v[6:7], v[36:37]
	v_mul_f64_e32 v[67:68], s[6:7], v[89:90]
	v_mul_f64_e32 v[65:66], s[14:15], v[22:23]
	v_fma_f64 v[44:45], v[79:80], s[6:7], v[75:76]
	v_fma_f64 v[2:3], v[79:80], s[10:11], v[2:3]
	v_mul_f64_e32 v[52:53], s[10:11], v[59:60]
	v_mul_f64_e32 v[54:55], s[2:3], v[63:64]
	;; [unrolled: 1-line block ×6, first 2 shown]
	v_add_f64_e32 v[26:27], v[26:27], v[28:29]
	v_fma_f64 v[36:37], v[38:39], s[12:13], v[10:11]
	v_fma_f64 v[75:76], v[38:39], s[12:13], v[18:19]
	;; [unrolled: 1-line block ×6, first 2 shown]
	v_add_f64_e32 v[8:9], v[24:25], v[16:17]
	v_fma_f64 v[46:47], v[20:21], s[10:11], -v[65:66]
	v_fma_f64 v[44:45], v[12:13], s[12:13], v[44:45]
	v_fma_f64 v[2:3], v[12:13], s[12:13], v[2:3]
	v_add_f64_e64 v[12:13], v[24:25], -v[16:17]
	v_fma_f64 v[30:31], v[89:90], s[14:15], v[52:53]
	v_fma_f64 v[52:53], v[59:60], s[14:15], v[67:68]
	v_fma_f64 v[34:35], v[34:35], s[12:13], v[54:55]
	v_fma_f64 v[32:33], v[32:33], s[2:3], -v[57:58]
	v_fma_f64 v[54:55], v[63:64], s[12:13], v[69:70]
	v_fma_f64 v[57:58], v[85:86], s[0:1], -v[71:72]
	v_fma_f64 v[59:60], v[22:23], s[6:7], -v[73:74]
	v_cmp_gt_u32_e64 s0, 45, v48
	v_add_f64_e32 v[6:7], v[26:27], v[14:15]
	v_add_f64_e64 v[10:11], v[26:27], -v[14:15]
	v_add_f64_e32 v[26:27], v[75:76], v[46:47]
	v_add_f64_e32 v[14:15], v[36:37], v[30:31]
	;; [unrolled: 1-line block ×8, first 2 shown]
	v_add_f64_e64 v[30:31], v[36:37], -v[30:31]
	v_add_f64_e64 v[34:35], v[38:39], -v[34:35]
	;; [unrolled: 1-line block ×8, first 2 shown]
	ds_store_b128 v4, v[6:9]
	ds_store_b128 v4, v[14:17] offset:80
	ds_store_b128 v4, v[18:21] offset:160
	;; [unrolled: 1-line block ×9, first 2 shown]
	global_wb scope:SCOPE_SE
	s_wait_dscnt 0x0
	s_barrier_signal -1
	s_barrier_wait -1
	global_inv scope:SCOPE_SE
	ds_load_b128 v[12:15], v56
	ds_load_b128 v[4:7], v56 offset:2160
	ds_load_b128 v[40:43], v56 offset:14400
	ds_load_b128 v[28:31], v56 offset:16560
	ds_load_b128 v[44:47], v56 offset:7200
	ds_load_b128 v[8:11], v56 offset:4320
	ds_load_b128 v[36:39], v56 offset:9360
	ds_load_b128 v[20:23], v56 offset:11520
	ds_load_b128 v[16:19], v56 offset:18720
                                        ; implicit-def: $vgpr34_vgpr35
                                        ; implicit-def: $vgpr26_vgpr27
	s_and_saveexec_b32 s1, s0
	s_cbranch_execz .LBB0_19
; %bb.18:
	ds_load_b128 v[0:3], v56 offset:6480
	ds_load_b128 v[24:27], v56 offset:13680
	;; [unrolled: 1-line block ×3, first 2 shown]
.LBB0_19:
	s_wait_alu 0xfffe
	s_or_b32 exec_lo, exec_lo, s1
	v_mul_lo_u16 v49, v49, 41
	v_add_nc_u32_e32 v54, 0x87, v48
	v_add_nc_u32_e32 v57, 0x10e, v48
	s_mov_b32 s2, 0xe8584caa
	s_mov_b32 s3, 0x3febb67a
	v_lshrrev_b16 v53, 11, v49
	s_mov_b32 s7, 0xbfebb67a
	s_wait_alu 0xfffe
	s_mov_b32 s6, s2
	s_delay_alu instid0(VALU_DEP_1) | instskip(SKIP_1) | instid1(VALU_DEP_2)
	v_mul_lo_u16 v49, v53, 50
	v_and_b32_e32 v53, 0xffff, v53
	v_sub_nc_u16 v49, v48, v49
	s_delay_alu instid0(VALU_DEP_2) | instskip(NEXT) | instid1(VALU_DEP_2)
	v_mul_u32_u24_e32 v53, 0x960, v53
	v_and_b32_e32 v97, 0xff, v49
	s_delay_alu instid0(VALU_DEP_1) | instskip(SKIP_4) | instid1(VALU_DEP_1)
	v_lshlrev_b32_e32 v49, 5, v97
	s_clause 0x1
	global_load_b128 v[59:62], v49, s[4:5] offset:720
	global_load_b128 v[63:66], v49, s[4:5] offset:736
	v_lshrrev_b16 v49, 1, v54
	v_and_b32_e32 v49, 0xffff, v49
	s_delay_alu instid0(VALU_DEP_1) | instskip(NEXT) | instid1(VALU_DEP_1)
	v_mul_u32_u24_e32 v49, 0x147b, v49
	v_lshrrev_b32_e32 v98, 17, v49
	s_delay_alu instid0(VALU_DEP_1) | instskip(NEXT) | instid1(VALU_DEP_1)
	v_mul_lo_u16 v49, v98, 50
	v_sub_nc_u16 v49, v54, v49
	s_delay_alu instid0(VALU_DEP_1) | instskip(SKIP_1) | instid1(VALU_DEP_2)
	v_and_b32_e32 v99, 0xffff, v49
	v_lshrrev_b16 v49, 1, v57
	v_lshlrev_b32_e32 v52, 5, v99
	s_delay_alu instid0(VALU_DEP_2) | instskip(SKIP_4) | instid1(VALU_DEP_1)
	v_and_b32_e32 v55, 0xffff, v49
	s_clause 0x1
	global_load_b128 v[67:70], v52, s[4:5] offset:720
	global_load_b128 v[71:74], v52, s[4:5] offset:736
	v_mul_u32_u24_e32 v49, 0x147b, v55
	v_lshrrev_b32_e32 v100, 17, v49
	v_add_nc_u32_e32 v49, 0x195, v48
	s_delay_alu instid0(VALU_DEP_2) | instskip(NEXT) | instid1(VALU_DEP_2)
	v_mul_lo_u16 v58, v100, 50
	v_lshrrev_b16 v52, 1, v49
	s_delay_alu instid0(VALU_DEP_2) | instskip(NEXT) | instid1(VALU_DEP_1)
	v_sub_nc_u16 v58, v57, v58
	v_and_b32_e32 v101, 0xffff, v58
	s_delay_alu instid0(VALU_DEP_3) | instskip(NEXT) | instid1(VALU_DEP_2)
	v_and_b32_e32 v58, 0xffff, v52
	v_lshlrev_b32_e32 v85, 5, v101
	s_delay_alu instid0(VALU_DEP_2) | instskip(SKIP_2) | instid1(VALU_DEP_1)
	v_mul_u32_u24_e32 v52, 0x147b, v58
	global_load_b128 v[75:78], v85, s[4:5] offset:720
	v_lshrrev_b32_e32 v52, 17, v52
	v_mul_lo_u16 v52, v52, 50
	s_delay_alu instid0(VALU_DEP_1) | instskip(NEXT) | instid1(VALU_DEP_1)
	v_sub_nc_u16 v52, v49, v52
	v_and_b32_e32 v52, 0xffff, v52
	s_delay_alu instid0(VALU_DEP_1)
	v_lshlrev_b32_e32 v86, 5, v52
	s_wait_loadcnt_dscnt 0x404
	v_mul_f64_e32 v[79:80], v[46:47], v[61:62]
	v_mul_f64_e32 v[61:62], v[44:45], v[61:62]
	s_wait_loadcnt 0x3
	v_mul_f64_e32 v[81:82], v[42:43], v[65:66]
	v_mul_f64_e32 v[65:66], v[40:41], v[65:66]
	s_delay_alu instid0(VALU_DEP_4) | instskip(NEXT) | instid1(VALU_DEP_4)
	v_fma_f64 v[79:80], v[44:45], v[59:60], -v[79:80]
	v_fma_f64 v[83:84], v[46:47], v[59:60], v[61:62]
	s_clause 0x1
	global_load_b128 v[44:47], v85, s[4:5] offset:736
	global_load_b128 v[59:62], v86, s[4:5] offset:720
	v_fma_f64 v[81:82], v[40:41], v[63:64], -v[81:82]
	v_fma_f64 v[63:64], v[42:43], v[63:64], v[65:66]
	global_load_b128 v[40:43], v86, s[4:5] offset:736
	s_wait_loadcnt_dscnt 0x502
	v_mul_f64_e32 v[65:66], v[38:39], v[69:70]
	v_mul_f64_e32 v[69:70], v[36:37], v[69:70]
	s_wait_loadcnt 0x4
	v_mul_f64_e32 v[85:86], v[30:31], v[73:74]
	global_wb scope:SCOPE_SE
	s_wait_loadcnt_dscnt 0x0
	s_barrier_signal -1
	s_barrier_wait -1
	global_inv scope:SCOPE_SE
	v_fma_f64 v[36:37], v[36:37], v[67:68], -v[65:66]
	v_mul_f64_e32 v[65:66], v[28:29], v[73:74]
	v_fma_f64 v[38:39], v[38:39], v[67:68], v[69:70]
	v_mul_f64_e32 v[67:68], v[22:23], v[77:78]
	v_mul_f64_e32 v[69:70], v[20:21], v[77:78]
	v_fma_f64 v[28:29], v[28:29], v[71:72], -v[85:86]
	v_fma_f64 v[30:31], v[30:31], v[71:72], v[65:66]
	s_delay_alu instid0(VALU_DEP_4) | instskip(NEXT) | instid1(VALU_DEP_4)
	v_fma_f64 v[20:21], v[20:21], v[75:76], -v[67:68]
	v_fma_f64 v[22:23], v[22:23], v[75:76], v[69:70]
	v_add_f64_e32 v[69:70], v[12:13], v[79:80]
	v_add_f64_e32 v[75:76], v[6:7], v[38:39]
	v_add_f64_e64 v[91:92], v[36:37], -v[28:29]
	v_add_f64_e32 v[77:78], v[8:9], v[20:21]
	v_add_f64_e32 v[85:86], v[10:11], v[22:23]
	v_mul_f64_e32 v[73:74], v[18:19], v[46:47]
	v_mul_f64_e32 v[46:47], v[16:17], v[46:47]
	;; [unrolled: 1-line block ×6, first 2 shown]
	v_fma_f64 v[16:17], v[16:17], v[44:45], -v[73:74]
	v_fma_f64 v[18:19], v[18:19], v[44:45], v[46:47]
	v_fma_f64 v[24:25], v[24:25], v[59:60], -v[65:66]
	v_fma_f64 v[26:27], v[26:27], v[59:60], v[61:62]
	v_fma_f64 v[32:33], v[32:33], v[40:41], -v[71:72]
	v_fma_f64 v[34:35], v[34:35], v[40:41], v[42:43]
	v_add_f64_e32 v[40:41], v[79:80], v[81:82]
	v_add_f64_e32 v[42:43], v[83:84], v[63:64]
	;; [unrolled: 1-line block ×6, first 2 shown]
	v_add_f64_e64 v[83:84], v[83:84], -v[63:64]
	v_add_f64_e64 v[79:80], v[79:80], -v[81:82]
	v_add_f64_e64 v[38:39], v[38:39], -v[30:31]
	v_add_f64_e32 v[59:60], v[20:21], v[16:17]
	v_add_f64_e32 v[61:62], v[22:23], v[18:19]
	;; [unrolled: 1-line block ×6, first 2 shown]
	v_fma_f64 v[40:41], v[40:41], -0.5, v[12:13]
	v_fma_f64 v[42:43], v[42:43], -0.5, v[14:15]
	;; [unrolled: 1-line block ×4, first 2 shown]
	v_add_f64_e64 v[22:23], v[22:23], -v[18:19]
	v_add_f64_e64 v[20:21], v[20:21], -v[16:17]
	;; [unrolled: 1-line block ×4, first 2 shown]
	v_add_f64_e32 v[4:5], v[69:70], v[81:82]
	v_add_f64_e32 v[6:7], v[71:72], v[63:64]
	;; [unrolled: 1-line block ×4, first 2 shown]
	v_fma_f64 v[59:60], v[59:60], -0.5, v[8:9]
	v_fma_f64 v[61:62], v[61:62], -0.5, v[10:11]
	v_add_f64_e32 v[8:9], v[73:74], v[28:29]
	v_add_f64_e32 v[10:11], v[75:76], v[30:31]
	v_fma_f64 v[65:66], v[65:66], -0.5, v[0:1]
	v_fma_f64 v[67:68], v[67:68], -0.5, v[2:3]
	v_add_f64_e32 v[0:1], v[87:88], v[32:33]
	v_add_f64_e32 v[2:3], v[89:90], v[34:35]
	v_fma_f64 v[24:25], v[83:84], s[2:3], v[40:41]
	s_wait_alu 0xfffe
	v_fma_f64 v[28:29], v[83:84], s[6:7], v[40:41]
	v_fma_f64 v[26:27], v[79:80], s[6:7], v[42:43]
	;; [unrolled: 1-line block ×15, first 2 shown]
	v_lshlrev_b32_e32 v59, 4, v97
	v_mul_u32_u24_e32 v60, 0x960, v98
	v_mul_u32_u24_e32 v61, 0x960, v100
	v_lshlrev_b32_e32 v62, 4, v101
	s_delay_alu instid0(VALU_DEP_4) | instskip(SKIP_1) | instid1(VALU_DEP_1)
	v_add3_u32 v53, 0, v53, v59
	v_lshlrev_b32_e32 v59, 4, v99
	v_add3_u32 v59, 0, v60, v59
	s_delay_alu instid0(VALU_DEP_4)
	v_add3_u32 v60, 0, v61, v62
	ds_store_b128 v53, v[4:7]
	ds_store_b128 v53, v[24:27] offset:800
	ds_store_b128 v53, v[28:31] offset:1600
	ds_store_b128 v59, v[8:11]
	ds_store_b128 v59, v[32:35] offset:800
	ds_store_b128 v59, v[36:39] offset:1600
	;; [unrolled: 3-line block ×3, first 2 shown]
	s_and_saveexec_b32 s1, s0
	s_cbranch_execz .LBB0_21
; %bb.20:
	v_lshl_add_u32 v4, v52, 4, 0
	ds_store_b128 v4, v[0:3] offset:19200
	ds_store_b128 v4, v[16:19] offset:20000
	;; [unrolled: 1-line block ×3, first 2 shown]
.LBB0_21:
	s_wait_alu 0xfffe
	s_or_b32 exec_lo, exec_lo, s1
	global_wb scope:SCOPE_SE
	s_wait_dscnt 0x0
	s_barrier_signal -1
	s_barrier_wait -1
	global_inv scope:SCOPE_SE
	ds_load_b128 v[8:11], v56
	ds_load_b128 v[4:7], v56 offset:2160
	ds_load_b128 v[40:43], v56 offset:14400
	ds_load_b128 v[32:35], v56 offset:16560
	ds_load_b128 v[44:47], v56 offset:7200
	ds_load_b128 v[12:15], v56 offset:4320
	ds_load_b128 v[36:39], v56 offset:9360
	ds_load_b128 v[24:27], v56 offset:11520
	ds_load_b128 v[28:31], v56 offset:18720
	s_and_saveexec_b32 s1, s0
	s_cbranch_execz .LBB0_23
; %bb.22:
	ds_load_b128 v[0:3], v56 offset:6480
	ds_load_b128 v[16:19], v56 offset:13680
	;; [unrolled: 1-line block ×3, first 2 shown]
.LBB0_23:
	s_wait_alu 0xfffe
	s_or_b32 exec_lo, exec_lo, s1
	v_dual_mov_b32 v68, 0 :: v_dual_lshlrev_b32 v67, 1, v48
	v_mul_u32_u24_e32 v55, 0xda75, v55
	s_mov_b32 s6, s2
	s_delay_alu instid0(VALU_DEP_2) | instskip(SKIP_1) | instid1(VALU_DEP_3)
	v_lshlrev_b64_e32 v[52:53], 4, v[67:68]
	v_add_nc_u32_e32 v67, -15, v48
	v_lshrrev_b32_e32 v98, 22, v55
	v_mul_u32_u24_e32 v55, 0xda75, v58
	s_delay_alu instid0(VALU_DEP_4)
	v_add_co_u32 v52, s1, s4, v52
	s_wait_alu 0xf1ff
	v_add_co_ci_u32_e64 v53, s1, s5, v53, s1
	v_cmp_gt_u32_e64 s1, 15, v48
	v_lshrrev_b32_e32 v55, 22, v55
	s_clause 0x1
	global_load_b128 v[59:62], v[52:53], off offset:2320
	global_load_b128 v[63:66], v[52:53], off offset:2336
	v_mul_lo_u16 v58, 0x96, v98
	s_wait_alu 0xf1ff
	v_cndmask_b32_e64 v97, v67, v54, s1
	v_mul_lo_u16 v55, 0x96, v55
	s_delay_alu instid0(VALU_DEP_3) | instskip(NEXT) | instid1(VALU_DEP_3)
	v_sub_nc_u16 v58, v57, v58
	v_lshlrev_b32_e32 v67, 1, v97
	s_delay_alu instid0(VALU_DEP_3) | instskip(NEXT) | instid1(VALU_DEP_3)
	v_sub_nc_u16 v55, v49, v55
	v_and_b32_e32 v99, 0xffff, v58
	s_delay_alu instid0(VALU_DEP_3) | instskip(NEXT) | instid1(VALU_DEP_3)
	v_lshlrev_b64_e32 v[67:68], 4, v[67:68]
	v_and_b32_e32 v55, 0xffff, v55
	s_delay_alu instid0(VALU_DEP_3) | instskip(NEXT) | instid1(VALU_DEP_3)
	v_lshlrev_b32_e32 v58, 5, v99
	v_add_co_u32 v71, s1, s4, v67
	s_wait_alu 0xf1ff
	s_delay_alu instid0(VALU_DEP_4)
	v_add_co_ci_u32_e64 v72, s1, s5, v68, s1
	v_lshlrev_b32_e32 v87, 5, v55
	s_clause 0x3
	global_load_b128 v[67:70], v[71:72], off offset:2320
	global_load_b128 v[71:74], v[71:72], off offset:2336
	global_load_b128 v[75:78], v58, s[4:5] offset:2320
	global_load_b128 v[79:82], v58, s[4:5] offset:2336
	v_cmp_lt_u32_e64 s1, 14, v48
	s_wait_loadcnt_dscnt 0x504
	v_mul_f64_e32 v[83:84], v[46:47], v[61:62]
	v_mul_f64_e32 v[61:62], v[44:45], v[61:62]
	s_delay_alu instid0(VALU_DEP_2) | instskip(NEXT) | instid1(VALU_DEP_2)
	v_fma_f64 v[83:84], v[44:45], v[59:60], -v[83:84]
	v_fma_f64 v[85:86], v[46:47], v[59:60], v[61:62]
	s_clause 0x1
	global_load_b128 v[44:47], v87, s[4:5] offset:2320
	global_load_b128 v[58:61], v87, s[4:5] offset:2336
	s_wait_loadcnt 0x6
	v_mul_f64_e32 v[87:88], v[42:43], v[65:66]
	v_mul_f64_e32 v[65:66], v[40:41], v[65:66]
	global_wb scope:SCOPE_SE
	s_wait_loadcnt_dscnt 0x0
	s_barrier_signal -1
	s_barrier_wait -1
	global_inv scope:SCOPE_SE
	v_fma_f64 v[40:41], v[40:41], v[63:64], -v[87:88]
	v_fma_f64 v[42:43], v[42:43], v[63:64], v[65:66]
	v_mul_f64_e32 v[62:63], v[38:39], v[69:70]
	v_mul_f64_e32 v[64:65], v[36:37], v[69:70]
	;; [unrolled: 1-line block ×4, first 2 shown]
	s_delay_alu instid0(VALU_DEP_4) | instskip(NEXT) | instid1(VALU_DEP_4)
	v_fma_f64 v[36:37], v[36:37], v[67:68], -v[62:63]
	v_fma_f64 v[38:39], v[38:39], v[67:68], v[64:65]
	v_mul_f64_e32 v[62:63], v[26:27], v[77:78]
	v_fma_f64 v[32:33], v[32:33], v[71:72], -v[69:70]
	v_fma_f64 v[34:35], v[34:35], v[71:72], v[73:74]
	v_mul_f64_e32 v[64:65], v[24:25], v[77:78]
	v_mul_f64_e32 v[66:67], v[30:31], v[81:82]
	;; [unrolled: 1-line block ×3, first 2 shown]
	v_add_f64_e64 v[72:73], v[85:86], -v[42:43]
	v_fma_f64 v[24:25], v[24:25], v[75:76], -v[62:63]
	v_fma_f64 v[26:27], v[26:27], v[75:76], v[64:65]
	v_fma_f64 v[28:29], v[28:29], v[79:80], -v[66:67]
	v_fma_f64 v[30:31], v[30:31], v[79:80], v[77:78]
	v_add_f64_e32 v[74:75], v[10:11], v[85:86]
	v_add_f64_e32 v[76:77], v[4:5], v[36:37]
	v_add_f64_e32 v[78:79], v[6:7], v[38:39]
	v_add_f64_e32 v[80:81], v[12:13], v[24:25]
	v_add_f64_e64 v[91:92], v[24:25], -v[28:29]
	v_add_f64_e32 v[64:65], v[26:27], v[30:31]
	s_delay_alu instid0(VALU_DEP_1) | instskip(SKIP_4) | instid1(VALU_DEP_4)
	v_fma_f64 v[64:65], v[64:65], -0.5, v[14:15]
	v_mul_f64_e32 v[68:69], v[18:19], v[46:47]
	v_mul_f64_e32 v[70:71], v[22:23], v[60:61]
	v_mul_f64_e32 v[46:47], v[16:17], v[46:47]
	v_mul_f64_e32 v[60:61], v[20:21], v[60:61]
	v_fma_f64 v[16:17], v[16:17], v[44:45], -v[68:69]
	s_delay_alu instid0(VALU_DEP_4) | instskip(NEXT) | instid1(VALU_DEP_4)
	v_fma_f64 v[62:63], v[20:21], v[58:59], -v[70:71]
	v_fma_f64 v[18:19], v[18:19], v[44:45], v[46:47]
	s_delay_alu instid0(VALU_DEP_4)
	v_fma_f64 v[44:45], v[22:23], v[58:59], v[60:61]
	v_add_f64_e32 v[20:21], v[83:84], v[40:41]
	v_add_f64_e32 v[22:23], v[85:86], v[42:43]
	;; [unrolled: 1-line block ×7, first 2 shown]
	v_add_f64_e64 v[82:83], v[83:84], -v[40:41]
	v_add_f64_e64 v[38:39], v[38:39], -v[34:35]
	v_add_f64_e32 v[14:15], v[74:75], v[42:43]
	s_wait_alu 0xfffe
	v_fma_f64 v[42:43], v[91:92], s[6:7], v[64:65]
	v_add_f64_e32 v[87:88], v[0:1], v[16:17]
	v_add_f64_e32 v[66:67], v[16:17], v[62:63]
	;; [unrolled: 1-line block ×4, first 2 shown]
	v_fma_f64 v[8:9], v[20:21], -0.5, v[8:9]
	v_fma_f64 v[10:11], v[22:23], -0.5, v[10:11]
	;; [unrolled: 1-line block ×3, first 2 shown]
	v_add_f64_e64 v[46:47], v[36:37], -v[32:33]
	v_fma_f64 v[6:7], v[58:59], -0.5, v[6:7]
	v_add_f64_e64 v[93:94], v[18:19], -v[44:45]
	v_add_f64_e64 v[95:96], v[16:17], -v[62:63]
	;; [unrolled: 1-line block ×3, first 2 shown]
	v_fma_f64 v[60:61], v[60:61], -0.5, v[12:13]
	v_add_f64_e32 v[12:13], v[70:71], v[40:41]
	v_add_f64_e32 v[16:17], v[76:77], v[32:33]
	v_add_f64_e32 v[18:19], v[78:79], v[34:35]
	v_add_f64_e32 v[20:21], v[80:81], v[28:29]
	v_add_f64_e32 v[22:23], v[85:86], v[30:31]
	v_fma_f64 v[66:67], v[66:67], -0.5, v[0:1]
	v_add_f64_e32 v[0:1], v[87:88], v[62:63]
	v_fma_f64 v[68:69], v[68:69], -0.5, v[2:3]
	v_add_f64_e32 v[2:3], v[89:90], v[44:45]
	v_fma_f64 v[24:25], v[72:73], s[2:3], v[8:9]
	v_fma_f64 v[28:29], v[72:73], s[6:7], v[8:9]
	;; [unrolled: 1-line block ×11, first 2 shown]
	s_wait_alu 0xf1ff
	v_cndmask_b32_e64 v58, 0, 0x1c20, s1
	v_lshlrev_b32_e32 v59, 4, v97
	v_mul_u32_u24_e32 v60, 0x1c20, v98
	s_delay_alu instid0(VALU_DEP_2) | instskip(SKIP_1) | instid1(VALU_DEP_1)
	v_add3_u32 v58, 0, v58, v59
	v_lshlrev_b32_e32 v59, 4, v99
	v_add3_u32 v59, 0, v60, v59
	ds_store_b128 v56, v[12:15]
	ds_store_b128 v56, v[24:27] offset:2400
	ds_store_b128 v56, v[28:31] offset:4800
	ds_store_b128 v58, v[16:19]
	ds_store_b128 v58, v[32:35] offset:2400
	ds_store_b128 v58, v[36:39] offset:4800
	;; [unrolled: 3-line block ×3, first 2 shown]
	v_fma_f64 v[4:5], v[93:94], s[2:3], v[66:67]
	v_fma_f64 v[8:9], v[93:94], s[6:7], v[66:67]
	v_fma_f64 v[6:7], v[95:96], s[6:7], v[68:69]
	v_fma_f64 v[10:11], v[95:96], s[2:3], v[68:69]
	s_and_saveexec_b32 s1, s0
	s_cbranch_execz .LBB0_25
; %bb.24:
	v_lshl_add_u32 v12, v55, 4, 0
	ds_store_b128 v12, v[0:3] offset:14400
	ds_store_b128 v12, v[4:7] offset:16800
	;; [unrolled: 1-line block ×3, first 2 shown]
.LBB0_25:
	s_wait_alu 0xfffe
	s_or_b32 exec_lo, exec_lo, s1
	global_wb scope:SCOPE_SE
	s_wait_dscnt 0x0
	s_barrier_signal -1
	s_barrier_wait -1
	global_inv scope:SCOPE_SE
	ds_load_b128 v[20:23], v56
	ds_load_b128 v[12:15], v56 offset:2160
	ds_load_b128 v[36:39], v56 offset:14400
	;; [unrolled: 1-line block ×8, first 2 shown]
	s_and_saveexec_b32 s1, s0
	s_cbranch_execz .LBB0_27
; %bb.26:
	ds_load_b128 v[0:3], v56 offset:6480
	ds_load_b128 v[4:7], v56 offset:13680
	;; [unrolled: 1-line block ×3, first 2 shown]
.LBB0_27:
	s_wait_alu 0xfffe
	s_or_b32 exec_lo, exec_lo, s1
	v_dual_mov_b32 v55, 0 :: v_dual_lshlrev_b32 v54, 1, v54
	s_mov_b32 s6, s2
	s_delay_alu instid0(VALU_DEP_1)
	v_lshlrev_b64_e32 v[65:66], 4, v[54:55]
	v_lshlrev_b32_e32 v54, 1, v57
	s_clause 0x1
	global_load_b128 v[57:60], v[52:53], off offset:7136
	global_load_b128 v[61:64], v[52:53], off offset:7120
	v_lshlrev_b64_e32 v[52:53], 4, v[54:55]
	v_add_co_u32 v69, s1, s4, v65
	s_wait_alu 0xf1ff
	v_add_co_ci_u32_e64 v70, s1, s5, v66, s1
	s_delay_alu instid0(VALU_DEP_3)
	v_add_co_u32 v52, s1, s4, v52
	s_wait_alu 0xf1ff
	v_add_co_ci_u32_e64 v53, s1, s5, v53, s1
	s_clause 0x3
	global_load_b128 v[65:68], v[69:70], off offset:7120
	global_load_b128 v[69:72], v[69:70], off offset:7136
	;; [unrolled: 1-line block ×4, first 2 shown]
	global_wb scope:SCOPE_SE
	s_wait_loadcnt_dscnt 0x0
	s_barrier_signal -1
	s_barrier_wait -1
	global_inv scope:SCOPE_SE
	v_mul_f64_e32 v[81:82], v[38:39], v[59:60]
	v_mul_f64_e32 v[52:53], v[46:47], v[63:64]
	;; [unrolled: 1-line block ×12, first 2 shown]
	v_fma_f64 v[36:37], v[36:37], v[57:58], -v[81:82]
	v_fma_f64 v[44:45], v[44:45], v[61:62], -v[52:53]
	v_fma_f64 v[46:47], v[46:47], v[61:62], v[63:64]
	v_fma_f64 v[38:39], v[38:39], v[57:58], v[59:60]
	v_fma_f64 v[40:41], v[40:41], v[65:66], -v[83:84]
	v_fma_f64 v[24:25], v[24:25], v[69:70], -v[85:86]
	v_fma_f64 v[42:43], v[42:43], v[65:66], v[67:68]
	v_fma_f64 v[26:27], v[26:27], v[69:70], v[71:72]
	;; [unrolled: 4-line block ×3, first 2 shown]
	v_add_f64_e32 v[52:53], v[44:45], v[36:37]
	v_add_f64_e32 v[67:68], v[20:21], v[44:45]
	;; [unrolled: 1-line block ×3, first 2 shown]
	v_add_f64_e64 v[69:70], v[46:47], -v[38:39]
	v_add_f64_e32 v[46:47], v[22:23], v[46:47]
	v_add_f64_e64 v[44:45], v[44:45], -v[36:37]
	v_add_f64_e32 v[71:72], v[12:13], v[40:41]
	v_add_f64_e32 v[59:60], v[40:41], v[24:25]
	;; [unrolled: 1-line block ×8, first 2 shown]
	v_add_f64_e64 v[42:43], v[42:43], -v[26:27]
	v_add_f64_e64 v[40:41], v[40:41], -v[24:25]
	;; [unrolled: 1-line block ×4, first 2 shown]
	v_fma_f64 v[52:53], v[52:53], -0.5, v[20:21]
	v_fma_f64 v[57:58], v[57:58], -0.5, v[22:23]
	;; [unrolled: 1-line block ×3, first 2 shown]
	v_add_f64_e32 v[12:13], v[67:68], v[36:37]
	v_fma_f64 v[61:62], v[61:62], -0.5, v[14:15]
	v_add_f64_e32 v[14:15], v[46:47], v[38:39]
	v_fma_f64 v[63:64], v[63:64], -0.5, v[16:17]
	;; [unrolled: 2-line block ×3, first 2 shown]
	v_add_f64_e32 v[18:19], v[73:74], v[26:27]
	v_add_f64_e32 v[20:21], v[75:76], v[32:33]
	;; [unrolled: 1-line block ×3, first 2 shown]
	v_fma_f64 v[24:25], v[69:70], s[2:3], v[52:53]
	s_wait_alu 0xfffe
	v_fma_f64 v[28:29], v[69:70], s[6:7], v[52:53]
	v_fma_f64 v[26:27], v[44:45], s[6:7], v[57:58]
	;; [unrolled: 1-line block ×11, first 2 shown]
	ds_store_b128 v56, v[12:15]
	ds_store_b128 v56, v[16:19] offset:2160
	ds_store_b128 v56, v[24:27] offset:7200
	;; [unrolled: 1-line block ×8, first 2 shown]
	s_and_saveexec_b32 s1, s0
	s_cbranch_execz .LBB0_29
; %bb.28:
	v_subrev_nc_u32_e32 v12, 45, v48
	s_delay_alu instid0(VALU_DEP_1) | instskip(NEXT) | instid1(VALU_DEP_1)
	v_cndmask_b32_e64 v12, v12, v49, s0
	v_lshlrev_b32_e32 v54, 1, v12
	s_delay_alu instid0(VALU_DEP_1) | instskip(NEXT) | instid1(VALU_DEP_1)
	v_lshlrev_b64_e32 v[12:13], 4, v[54:55]
	v_add_co_u32 v16, s0, s4, v12
	s_wait_alu 0xf1ff
	s_delay_alu instid0(VALU_DEP_2)
	v_add_co_ci_u32_e64 v17, s0, s5, v13, s0
	s_clause 0x1
	global_load_b128 v[12:15], v[16:17], off offset:7120
	global_load_b128 v[16:19], v[16:17], off offset:7136
	s_wait_loadcnt 0x1
	v_mul_f64_e32 v[20:21], v[4:5], v[14:15]
	s_wait_loadcnt 0x0
	v_mul_f64_e32 v[22:23], v[8:9], v[18:19]
	v_mul_f64_e32 v[14:15], v[6:7], v[14:15]
	;; [unrolled: 1-line block ×3, first 2 shown]
	s_delay_alu instid0(VALU_DEP_4) | instskip(NEXT) | instid1(VALU_DEP_4)
	v_fma_f64 v[6:7], v[6:7], v[12:13], v[20:21]
	v_fma_f64 v[10:11], v[10:11], v[16:17], v[22:23]
	s_delay_alu instid0(VALU_DEP_4) | instskip(NEXT) | instid1(VALU_DEP_4)
	v_fma_f64 v[4:5], v[4:5], v[12:13], -v[14:15]
	v_fma_f64 v[8:9], v[8:9], v[16:17], -v[18:19]
	s_delay_alu instid0(VALU_DEP_4) | instskip(NEXT) | instid1(VALU_DEP_4)
	v_add_f64_e32 v[18:19], v[2:3], v[6:7]
	v_add_f64_e32 v[12:13], v[6:7], v[10:11]
	v_add_f64_e64 v[20:21], v[6:7], -v[10:11]
	s_delay_alu instid0(VALU_DEP_4)
	v_add_f64_e32 v[14:15], v[4:5], v[8:9]
	v_add_f64_e64 v[16:17], v[4:5], -v[8:9]
	v_add_f64_e32 v[4:5], v[0:1], v[4:5]
	v_fma_f64 v[12:13], v[12:13], -0.5, v[2:3]
	v_add_f64_e32 v[2:3], v[18:19], v[10:11]
	v_fma_f64 v[14:15], v[14:15], -0.5, v[0:1]
	s_delay_alu instid0(VALU_DEP_4) | instskip(NEXT) | instid1(VALU_DEP_4)
	v_add_f64_e32 v[0:1], v[4:5], v[8:9]
	v_fma_f64 v[10:11], v[16:17], s[6:7], v[12:13]
	v_fma_f64 v[6:7], v[16:17], s[2:3], v[12:13]
	s_delay_alu instid0(VALU_DEP_4)
	v_fma_f64 v[8:9], v[20:21], s[2:3], v[14:15]
	v_fma_f64 v[4:5], v[20:21], s[6:7], v[14:15]
	ds_store_b128 v56, v[0:3] offset:6480
	ds_store_b128 v56, v[8:11] offset:13680
	;; [unrolled: 1-line block ×3, first 2 shown]
.LBB0_29:
	s_wait_alu 0xfffe
	s_or_b32 exec_lo, exec_lo, s1
	global_wb scope:SCOPE_SE
	s_wait_dscnt 0x0
	s_barrier_signal -1
	s_barrier_wait -1
	global_inv scope:SCOPE_SE
	s_and_saveexec_b32 s0, vcc_lo
	s_cbranch_execz .LBB0_31
; %bb.30:
	v_dual_mov_b32 v49, 0 :: v_dual_add_nc_u32 v8, 0x87, v48
	v_add_co_u32 v36, vcc_lo, s8, v50
	v_lshl_add_u32 v34, v48, 4, 0
	s_delay_alu instid0(VALU_DEP_3) | instskip(SKIP_4) | instid1(VALU_DEP_4)
	v_lshlrev_b64_e32 v[0:1], 4, v[48:49]
	s_wait_alu 0xfffd
	v_add_co_ci_u32_e32 v37, vcc_lo, s9, v51, vcc_lo
	v_dual_mov_b32 v9, v49 :: v_dual_add_nc_u32 v10, 0x10e, v48
	v_dual_mov_b32 v11, v49 :: v_dual_add_nc_u32 v22, 0x195, v48
	v_add_co_u32 v16, vcc_lo, v36, v0
	s_wait_alu 0xfffd
	v_add_co_ci_u32_e32 v17, vcc_lo, v37, v1, vcc_lo
	ds_load_b128 v[0:3], v34
	ds_load_b128 v[4:7], v34 offset:2160
	v_lshlrev_b64_e32 v[18:19], 4, v[8:9]
	v_lshlrev_b64_e32 v[20:21], 4, v[10:11]
	ds_load_b128 v[8:11], v34 offset:4320
	ds_load_b128 v[12:15], v34 offset:6480
	v_dual_mov_b32 v23, v49 :: v_dual_add_nc_u32 v24, 0x21c, v48
	v_mov_b32_e32 v25, v49
	v_add_co_u32 v18, vcc_lo, v36, v18
	s_delay_alu instid0(VALU_DEP_3)
	v_lshlrev_b64_e32 v[22:23], 4, v[22:23]
	s_wait_alu 0xfffd
	v_add_co_ci_u32_e32 v19, vcc_lo, v37, v19, vcc_lo
	v_add_co_u32 v20, vcc_lo, v36, v20
	s_wait_alu 0xfffd
	v_add_co_ci_u32_e32 v21, vcc_lo, v37, v21, vcc_lo
	v_add_co_u32 v22, vcc_lo, v36, v22
	s_wait_dscnt 0x3
	global_store_b128 v[16:17], v[0:3], off
	s_wait_dscnt 0x2
	global_store_b128 v[18:19], v[4:7], off
	v_dual_mov_b32 v3, v49 :: v_dual_add_nc_u32 v2, 0x2a3, v48
	s_wait_alu 0xfffd
	v_add_co_ci_u32_e32 v23, vcc_lo, v37, v23, vcc_lo
	v_lshlrev_b64_e32 v[0:1], 4, v[24:25]
	s_wait_dscnt 0x1
	global_store_b128 v[20:21], v[8:11], off
	s_wait_dscnt 0x0
	global_store_b128 v[22:23], v[12:15], off
	v_add_nc_u32_e32 v10, 0x32a, v48
	v_lshlrev_b64_e32 v[8:9], 4, v[2:3]
	v_dual_mov_b32 v11, v49 :: v_dual_add_nc_u32 v16, 0x3b1, v48
	v_add_co_u32 v24, vcc_lo, v36, v0
	s_wait_alu 0xfffd
	v_add_co_ci_u32_e32 v25, vcc_lo, v37, v1, vcc_lo
	s_delay_alu instid0(VALU_DEP_4)
	v_add_co_u32 v26, vcc_lo, v36, v8
	s_wait_alu 0xfffd
	v_add_co_ci_u32_e32 v27, vcc_lo, v37, v9, vcc_lo
	v_lshlrev_b64_e32 v[8:9], 4, v[10:11]
	v_dual_mov_b32 v17, v49 :: v_dual_add_nc_u32 v18, 0x438, v48
	v_dual_mov_b32 v19, v49 :: v_dual_add_nc_u32 v48, 0x4bf, v48
	ds_load_b128 v[0:3], v34 offset:8640
	ds_load_b128 v[4:7], v34 offset:10800
	v_add_co_u32 v28, vcc_lo, v36, v8
	s_wait_alu 0xfffd
	v_add_co_ci_u32_e32 v29, vcc_lo, v37, v9, vcc_lo
	ds_load_b128 v[8:11], v34 offset:12960
	ds_load_b128 v[12:15], v34 offset:15120
	v_lshlrev_b64_e32 v[30:31], 4, v[16:17]
	v_lshlrev_b64_e32 v[32:33], 4, v[18:19]
	ds_load_b128 v[16:19], v34 offset:17280
	ds_load_b128 v[20:23], v34 offset:19440
	v_lshlrev_b64_e32 v[34:35], 4, v[48:49]
	v_add_co_u32 v30, vcc_lo, v36, v30
	s_wait_alu 0xfffd
	v_add_co_ci_u32_e32 v31, vcc_lo, v37, v31, vcc_lo
	v_add_co_u32 v32, vcc_lo, v36, v32
	s_wait_alu 0xfffd
	v_add_co_ci_u32_e32 v33, vcc_lo, v37, v33, vcc_lo
	;; [unrolled: 3-line block ×3, first 2 shown]
	s_wait_dscnt 0x5
	global_store_b128 v[24:25], v[0:3], off
	s_wait_dscnt 0x4
	global_store_b128 v[26:27], v[4:7], off
	;; [unrolled: 2-line block ×6, first 2 shown]
.LBB0_31:
	s_nop 0
	s_sendmsg sendmsg(MSG_DEALLOC_VGPRS)
	s_endpgm
	.section	.rodata,"a",@progbits
	.p2align	6, 0x0
	.amdhsa_kernel fft_rtc_fwd_len1350_factors_5_10_3_3_3_wgs_135_tpt_135_halfLds_dp_ip_CI_unitstride_sbrr_C2R_dirReg
		.amdhsa_group_segment_fixed_size 0
		.amdhsa_private_segment_fixed_size 0
		.amdhsa_kernarg_size 88
		.amdhsa_user_sgpr_count 2
		.amdhsa_user_sgpr_dispatch_ptr 0
		.amdhsa_user_sgpr_queue_ptr 0
		.amdhsa_user_sgpr_kernarg_segment_ptr 1
		.amdhsa_user_sgpr_dispatch_id 0
		.amdhsa_user_sgpr_private_segment_size 0
		.amdhsa_wavefront_size32 1
		.amdhsa_uses_dynamic_stack 0
		.amdhsa_enable_private_segment 0
		.amdhsa_system_sgpr_workgroup_id_x 1
		.amdhsa_system_sgpr_workgroup_id_y 0
		.amdhsa_system_sgpr_workgroup_id_z 0
		.amdhsa_system_sgpr_workgroup_info 0
		.amdhsa_system_vgpr_workitem_id 0
		.amdhsa_next_free_vgpr 102
		.amdhsa_next_free_sgpr 32
		.amdhsa_reserve_vcc 1
		.amdhsa_float_round_mode_32 0
		.amdhsa_float_round_mode_16_64 0
		.amdhsa_float_denorm_mode_32 3
		.amdhsa_float_denorm_mode_16_64 3
		.amdhsa_fp16_overflow 0
		.amdhsa_workgroup_processor_mode 1
		.amdhsa_memory_ordered 1
		.amdhsa_forward_progress 0
		.amdhsa_round_robin_scheduling 0
		.amdhsa_exception_fp_ieee_invalid_op 0
		.amdhsa_exception_fp_denorm_src 0
		.amdhsa_exception_fp_ieee_div_zero 0
		.amdhsa_exception_fp_ieee_overflow 0
		.amdhsa_exception_fp_ieee_underflow 0
		.amdhsa_exception_fp_ieee_inexact 0
		.amdhsa_exception_int_div_zero 0
	.end_amdhsa_kernel
	.text
.Lfunc_end0:
	.size	fft_rtc_fwd_len1350_factors_5_10_3_3_3_wgs_135_tpt_135_halfLds_dp_ip_CI_unitstride_sbrr_C2R_dirReg, .Lfunc_end0-fft_rtc_fwd_len1350_factors_5_10_3_3_3_wgs_135_tpt_135_halfLds_dp_ip_CI_unitstride_sbrr_C2R_dirReg
                                        ; -- End function
	.section	.AMDGPU.csdata,"",@progbits
; Kernel info:
; codeLenInByte = 9856
; NumSgprs: 34
; NumVgprs: 102
; ScratchSize: 0
; MemoryBound: 0
; FloatMode: 240
; IeeeMode: 1
; LDSByteSize: 0 bytes/workgroup (compile time only)
; SGPRBlocks: 4
; VGPRBlocks: 12
; NumSGPRsForWavesPerEU: 34
; NumVGPRsForWavesPerEU: 102
; Occupancy: 12
; WaveLimiterHint : 1
; COMPUTE_PGM_RSRC2:SCRATCH_EN: 0
; COMPUTE_PGM_RSRC2:USER_SGPR: 2
; COMPUTE_PGM_RSRC2:TRAP_HANDLER: 0
; COMPUTE_PGM_RSRC2:TGID_X_EN: 1
; COMPUTE_PGM_RSRC2:TGID_Y_EN: 0
; COMPUTE_PGM_RSRC2:TGID_Z_EN: 0
; COMPUTE_PGM_RSRC2:TIDIG_COMP_CNT: 0
	.text
	.p2alignl 7, 3214868480
	.fill 96, 4, 3214868480
	.type	__hip_cuid_6958cf12de5d4fd8,@object ; @__hip_cuid_6958cf12de5d4fd8
	.section	.bss,"aw",@nobits
	.globl	__hip_cuid_6958cf12de5d4fd8
__hip_cuid_6958cf12de5d4fd8:
	.byte	0                               ; 0x0
	.size	__hip_cuid_6958cf12de5d4fd8, 1

	.ident	"AMD clang version 19.0.0git (https://github.com/RadeonOpenCompute/llvm-project roc-6.4.0 25133 c7fe45cf4b819c5991fe208aaa96edf142730f1d)"
	.section	".note.GNU-stack","",@progbits
	.addrsig
	.addrsig_sym __hip_cuid_6958cf12de5d4fd8
	.amdgpu_metadata
---
amdhsa.kernels:
  - .args:
      - .actual_access:  read_only
        .address_space:  global
        .offset:         0
        .size:           8
        .value_kind:     global_buffer
      - .offset:         8
        .size:           8
        .value_kind:     by_value
      - .actual_access:  read_only
        .address_space:  global
        .offset:         16
        .size:           8
        .value_kind:     global_buffer
      - .actual_access:  read_only
        .address_space:  global
        .offset:         24
        .size:           8
        .value_kind:     global_buffer
      - .offset:         32
        .size:           8
        .value_kind:     by_value
      - .actual_access:  read_only
        .address_space:  global
        .offset:         40
        .size:           8
        .value_kind:     global_buffer
      - .actual_access:  read_only
        .address_space:  global
        .offset:         48
        .size:           8
        .value_kind:     global_buffer
      - .offset:         56
        .size:           4
        .value_kind:     by_value
      - .actual_access:  read_only
        .address_space:  global
        .offset:         64
        .size:           8
        .value_kind:     global_buffer
      - .actual_access:  read_only
        .address_space:  global
        .offset:         72
        .size:           8
        .value_kind:     global_buffer
      - .address_space:  global
        .offset:         80
        .size:           8
        .value_kind:     global_buffer
    .group_segment_fixed_size: 0
    .kernarg_segment_align: 8
    .kernarg_segment_size: 88
    .language:       OpenCL C
    .language_version:
      - 2
      - 0
    .max_flat_workgroup_size: 135
    .name:           fft_rtc_fwd_len1350_factors_5_10_3_3_3_wgs_135_tpt_135_halfLds_dp_ip_CI_unitstride_sbrr_C2R_dirReg
    .private_segment_fixed_size: 0
    .sgpr_count:     34
    .sgpr_spill_count: 0
    .symbol:         fft_rtc_fwd_len1350_factors_5_10_3_3_3_wgs_135_tpt_135_halfLds_dp_ip_CI_unitstride_sbrr_C2R_dirReg.kd
    .uniform_work_group_size: 1
    .uses_dynamic_stack: false
    .vgpr_count:     102
    .vgpr_spill_count: 0
    .wavefront_size: 32
    .workgroup_processor_mode: 1
amdhsa.target:   amdgcn-amd-amdhsa--gfx1201
amdhsa.version:
  - 1
  - 2
...

	.end_amdgpu_metadata
